;; amdgpu-corpus repo=ROCm/rocFFT kind=compiled arch=gfx1201 opt=O3
	.text
	.amdgcn_target "amdgcn-amd-amdhsa--gfx1201"
	.amdhsa_code_object_version 6
	.protected	fft_rtc_fwd_len1372_factors_2_2_7_7_7_wgs_196_tpt_98_halfLds_half_op_CI_CI_unitstride_sbrr_C2R_dirReg ; -- Begin function fft_rtc_fwd_len1372_factors_2_2_7_7_7_wgs_196_tpt_98_halfLds_half_op_CI_CI_unitstride_sbrr_C2R_dirReg
	.globl	fft_rtc_fwd_len1372_factors_2_2_7_7_7_wgs_196_tpt_98_halfLds_half_op_CI_CI_unitstride_sbrr_C2R_dirReg
	.p2align	8
	.type	fft_rtc_fwd_len1372_factors_2_2_7_7_7_wgs_196_tpt_98_halfLds_half_op_CI_CI_unitstride_sbrr_C2R_dirReg,@function
fft_rtc_fwd_len1372_factors_2_2_7_7_7_wgs_196_tpt_98_halfLds_half_op_CI_CI_unitstride_sbrr_C2R_dirReg: ; @fft_rtc_fwd_len1372_factors_2_2_7_7_7_wgs_196_tpt_98_halfLds_half_op_CI_CI_unitstride_sbrr_C2R_dirReg
; %bb.0:
	s_clause 0x2
	s_load_b128 s[8:11], s[0:1], 0x0
	s_load_b128 s[4:7], s[0:1], 0x58
	;; [unrolled: 1-line block ×3, first 2 shown]
	v_mul_u32_u24_e32 v1, 0x29d, v0
	v_mov_b32_e32 v3, 0
	v_mov_b32_e32 v7, 0
	;; [unrolled: 1-line block ×3, first 2 shown]
	s_delay_alu instid0(VALU_DEP_4) | instskip(NEXT) | instid1(VALU_DEP_4)
	v_lshrrev_b32_e32 v11, 16, v1
	v_mov_b32_e32 v10, v3
	s_delay_alu instid0(VALU_DEP_2) | instskip(SKIP_2) | instid1(VALU_DEP_1)
	v_lshl_add_u32 v9, ttmp9, 1, v11
	s_wait_kmcnt 0x0
	v_cmp_lt_u64_e64 s2, s[10:11], 2
	s_and_b32 vcc_lo, exec_lo, s2
	s_cbranch_vccnz .LBB0_8
; %bb.1:
	s_load_b64 s[2:3], s[0:1], 0x10
	v_mov_b32_e32 v7, 0
	v_mov_b32_e32 v8, 0
	s_delay_alu instid0(VALU_DEP_2)
	v_mov_b32_e32 v1, v7
	s_add_nc_u64 s[16:17], s[14:15], 8
	s_add_nc_u64 s[18:19], s[12:13], 8
	s_mov_b64 s[20:21], 1
	v_mov_b32_e32 v2, v8
	s_wait_kmcnt 0x0
	s_add_nc_u64 s[22:23], s[2:3], 8
	s_mov_b32 s3, 0
.LBB0_2:                                ; =>This Inner Loop Header: Depth=1
	s_load_b64 s[24:25], s[22:23], 0x0
                                        ; implicit-def: $vgpr5_vgpr6
	s_mov_b32 s2, exec_lo
	s_wait_kmcnt 0x0
	v_or_b32_e32 v4, s25, v10
	s_delay_alu instid0(VALU_DEP_1)
	v_cmpx_ne_u64_e32 0, v[3:4]
	s_wait_alu 0xfffe
	s_xor_b32 s26, exec_lo, s2
	s_cbranch_execz .LBB0_4
; %bb.3:                                ;   in Loop: Header=BB0_2 Depth=1
	s_cvt_f32_u32 s2, s24
	s_cvt_f32_u32 s27, s25
	s_sub_nc_u64 s[30:31], 0, s[24:25]
	s_wait_alu 0xfffe
	s_delay_alu instid0(SALU_CYCLE_1) | instskip(SKIP_1) | instid1(SALU_CYCLE_2)
	s_fmamk_f32 s2, s27, 0x4f800000, s2
	s_wait_alu 0xfffe
	v_s_rcp_f32 s2, s2
	s_delay_alu instid0(TRANS32_DEP_1) | instskip(SKIP_1) | instid1(SALU_CYCLE_2)
	s_mul_f32 s2, s2, 0x5f7ffffc
	s_wait_alu 0xfffe
	s_mul_f32 s27, s2, 0x2f800000
	s_wait_alu 0xfffe
	s_delay_alu instid0(SALU_CYCLE_2) | instskip(SKIP_1) | instid1(SALU_CYCLE_2)
	s_trunc_f32 s27, s27
	s_wait_alu 0xfffe
	s_fmamk_f32 s2, s27, 0xcf800000, s2
	s_cvt_u32_f32 s29, s27
	s_wait_alu 0xfffe
	s_delay_alu instid0(SALU_CYCLE_1) | instskip(SKIP_1) | instid1(SALU_CYCLE_2)
	s_cvt_u32_f32 s28, s2
	s_wait_alu 0xfffe
	s_mul_u64 s[34:35], s[30:31], s[28:29]
	s_wait_alu 0xfffe
	s_mul_hi_u32 s37, s28, s35
	s_mul_i32 s36, s28, s35
	s_mul_hi_u32 s2, s28, s34
	s_mul_i32 s33, s29, s34
	s_wait_alu 0xfffe
	s_add_nc_u64 s[36:37], s[2:3], s[36:37]
	s_mul_hi_u32 s27, s29, s34
	s_mul_hi_u32 s38, s29, s35
	s_add_co_u32 s2, s36, s33
	s_wait_alu 0xfffe
	s_add_co_ci_u32 s2, s37, s27
	s_mul_i32 s34, s29, s35
	s_add_co_ci_u32 s35, s38, 0
	s_wait_alu 0xfffe
	s_add_nc_u64 s[34:35], s[2:3], s[34:35]
	s_wait_alu 0xfffe
	v_add_co_u32 v4, s2, s28, s34
	s_delay_alu instid0(VALU_DEP_1) | instskip(SKIP_1) | instid1(VALU_DEP_1)
	s_cmp_lg_u32 s2, 0
	s_add_co_ci_u32 s29, s29, s35
	v_readfirstlane_b32 s28, v4
	s_wait_alu 0xfffe
	s_delay_alu instid0(VALU_DEP_1)
	s_mul_u64 s[30:31], s[30:31], s[28:29]
	s_wait_alu 0xfffe
	s_mul_hi_u32 s35, s28, s31
	s_mul_i32 s34, s28, s31
	s_mul_hi_u32 s2, s28, s30
	s_mul_i32 s33, s29, s30
	s_wait_alu 0xfffe
	s_add_nc_u64 s[34:35], s[2:3], s[34:35]
	s_mul_hi_u32 s27, s29, s30
	s_mul_hi_u32 s28, s29, s31
	s_wait_alu 0xfffe
	s_add_co_u32 s2, s34, s33
	s_add_co_ci_u32 s2, s35, s27
	s_mul_i32 s30, s29, s31
	s_add_co_ci_u32 s31, s28, 0
	s_wait_alu 0xfffe
	s_add_nc_u64 s[30:31], s[2:3], s[30:31]
	s_wait_alu 0xfffe
	v_add_co_u32 v6, s2, v4, s30
	s_delay_alu instid0(VALU_DEP_1) | instskip(SKIP_1) | instid1(VALU_DEP_1)
	s_cmp_lg_u32 s2, 0
	s_add_co_ci_u32 s2, s29, s31
	v_mul_hi_u32 v16, v9, v6
	s_wait_alu 0xfffe
	v_mad_co_u64_u32 v[4:5], null, v9, s2, 0
	v_mad_co_u64_u32 v[12:13], null, v10, v6, 0
	;; [unrolled: 1-line block ×3, first 2 shown]
	s_delay_alu instid0(VALU_DEP_3) | instskip(SKIP_1) | instid1(VALU_DEP_4)
	v_add_co_u32 v4, vcc_lo, v16, v4
	s_wait_alu 0xfffd
	v_add_co_ci_u32_e32 v5, vcc_lo, 0, v5, vcc_lo
	s_delay_alu instid0(VALU_DEP_2) | instskip(SKIP_1) | instid1(VALU_DEP_2)
	v_add_co_u32 v4, vcc_lo, v4, v12
	s_wait_alu 0xfffd
	v_add_co_ci_u32_e32 v4, vcc_lo, v5, v13, vcc_lo
	s_wait_alu 0xfffd
	v_add_co_ci_u32_e32 v5, vcc_lo, 0, v15, vcc_lo
	s_delay_alu instid0(VALU_DEP_2) | instskip(SKIP_1) | instid1(VALU_DEP_2)
	v_add_co_u32 v12, vcc_lo, v4, v14
	s_wait_alu 0xfffd
	v_add_co_ci_u32_e32 v6, vcc_lo, 0, v5, vcc_lo
	s_delay_alu instid0(VALU_DEP_2) | instskip(SKIP_1) | instid1(VALU_DEP_3)
	v_mul_lo_u32 v13, s25, v12
	v_mad_co_u64_u32 v[4:5], null, s24, v12, 0
	v_mul_lo_u32 v14, s24, v6
	s_delay_alu instid0(VALU_DEP_2) | instskip(NEXT) | instid1(VALU_DEP_2)
	v_sub_co_u32 v4, vcc_lo, v9, v4
	v_add3_u32 v5, v5, v14, v13
	s_delay_alu instid0(VALU_DEP_1) | instskip(SKIP_1) | instid1(VALU_DEP_1)
	v_sub_nc_u32_e32 v13, v10, v5
	s_wait_alu 0xfffd
	v_subrev_co_ci_u32_e64 v13, s2, s25, v13, vcc_lo
	v_add_co_u32 v14, s2, v12, 2
	s_wait_alu 0xf1ff
	v_add_co_ci_u32_e64 v15, s2, 0, v6, s2
	v_sub_co_u32 v16, s2, v4, s24
	v_sub_co_ci_u32_e32 v5, vcc_lo, v10, v5, vcc_lo
	s_wait_alu 0xf1ff
	v_subrev_co_ci_u32_e64 v13, s2, 0, v13, s2
	s_delay_alu instid0(VALU_DEP_3) | instskip(NEXT) | instid1(VALU_DEP_3)
	v_cmp_le_u32_e32 vcc_lo, s24, v16
	v_cmp_eq_u32_e64 s2, s25, v5
	s_wait_alu 0xfffd
	v_cndmask_b32_e64 v16, 0, -1, vcc_lo
	v_cmp_le_u32_e32 vcc_lo, s25, v13
	s_wait_alu 0xfffd
	v_cndmask_b32_e64 v17, 0, -1, vcc_lo
	v_cmp_le_u32_e32 vcc_lo, s24, v4
	;; [unrolled: 3-line block ×3, first 2 shown]
	s_wait_alu 0xfffd
	v_cndmask_b32_e64 v18, 0, -1, vcc_lo
	v_cmp_eq_u32_e32 vcc_lo, s25, v13
	s_wait_alu 0xf1ff
	s_delay_alu instid0(VALU_DEP_2)
	v_cndmask_b32_e64 v4, v18, v4, s2
	s_wait_alu 0xfffd
	v_cndmask_b32_e32 v13, v17, v16, vcc_lo
	v_add_co_u32 v16, vcc_lo, v12, 1
	s_wait_alu 0xfffd
	v_add_co_ci_u32_e32 v17, vcc_lo, 0, v6, vcc_lo
	s_delay_alu instid0(VALU_DEP_3) | instskip(SKIP_1) | instid1(VALU_DEP_2)
	v_cmp_ne_u32_e32 vcc_lo, 0, v13
	s_wait_alu 0xfffd
	v_cndmask_b32_e32 v5, v17, v15, vcc_lo
	v_cndmask_b32_e32 v13, v16, v14, vcc_lo
	v_cmp_ne_u32_e32 vcc_lo, 0, v4
	s_wait_alu 0xfffd
	s_delay_alu instid0(VALU_DEP_3) | instskip(NEXT) | instid1(VALU_DEP_3)
	v_cndmask_b32_e32 v6, v6, v5, vcc_lo
	v_cndmask_b32_e32 v5, v12, v13, vcc_lo
.LBB0_4:                                ;   in Loop: Header=BB0_2 Depth=1
	s_wait_alu 0xfffe
	s_and_not1_saveexec_b32 s2, s26
	s_cbranch_execz .LBB0_6
; %bb.5:                                ;   in Loop: Header=BB0_2 Depth=1
	v_cvt_f32_u32_e32 v4, s24
	s_sub_co_i32 s26, 0, s24
	s_delay_alu instid0(VALU_DEP_1) | instskip(NEXT) | instid1(TRANS32_DEP_1)
	v_rcp_iflag_f32_e32 v4, v4
	v_mul_f32_e32 v4, 0x4f7ffffe, v4
	s_delay_alu instid0(VALU_DEP_1) | instskip(SKIP_1) | instid1(VALU_DEP_1)
	v_cvt_u32_f32_e32 v4, v4
	s_wait_alu 0xfffe
	v_mul_lo_u32 v5, s26, v4
	s_delay_alu instid0(VALU_DEP_1) | instskip(NEXT) | instid1(VALU_DEP_1)
	v_mul_hi_u32 v5, v4, v5
	v_add_nc_u32_e32 v4, v4, v5
	s_delay_alu instid0(VALU_DEP_1) | instskip(NEXT) | instid1(VALU_DEP_1)
	v_mul_hi_u32 v4, v9, v4
	v_mul_lo_u32 v5, v4, s24
	v_add_nc_u32_e32 v6, 1, v4
	s_delay_alu instid0(VALU_DEP_2) | instskip(NEXT) | instid1(VALU_DEP_1)
	v_sub_nc_u32_e32 v5, v9, v5
	v_subrev_nc_u32_e32 v12, s24, v5
	v_cmp_le_u32_e32 vcc_lo, s24, v5
	s_wait_alu 0xfffd
	s_delay_alu instid0(VALU_DEP_2) | instskip(NEXT) | instid1(VALU_DEP_1)
	v_dual_cndmask_b32 v5, v5, v12 :: v_dual_cndmask_b32 v4, v4, v6
	v_cmp_le_u32_e32 vcc_lo, s24, v5
	s_delay_alu instid0(VALU_DEP_2) | instskip(SKIP_1) | instid1(VALU_DEP_1)
	v_add_nc_u32_e32 v6, 1, v4
	s_wait_alu 0xfffd
	v_dual_cndmask_b32 v5, v4, v6 :: v_dual_mov_b32 v6, v3
.LBB0_6:                                ;   in Loop: Header=BB0_2 Depth=1
	s_wait_alu 0xfffe
	s_or_b32 exec_lo, exec_lo, s2
	s_delay_alu instid0(VALU_DEP_1) | instskip(NEXT) | instid1(VALU_DEP_2)
	v_mul_lo_u32 v4, v6, s24
	v_mul_lo_u32 v14, v5, s25
	s_load_b64 s[26:27], s[18:19], 0x0
	v_mad_co_u64_u32 v[12:13], null, v5, s24, 0
	s_load_b64 s[24:25], s[16:17], 0x0
	s_add_nc_u64 s[20:21], s[20:21], 1
	s_add_nc_u64 s[16:17], s[16:17], 8
	s_wait_alu 0xfffe
	v_cmp_ge_u64_e64 s2, s[20:21], s[10:11]
	s_add_nc_u64 s[18:19], s[18:19], 8
	s_add_nc_u64 s[22:23], s[22:23], 8
	v_add3_u32 v4, v13, v14, v4
	v_sub_co_u32 v9, vcc_lo, v9, v12
	s_wait_alu 0xfffd
	s_delay_alu instid0(VALU_DEP_2) | instskip(SKIP_2) | instid1(VALU_DEP_1)
	v_sub_co_ci_u32_e32 v4, vcc_lo, v10, v4, vcc_lo
	s_and_b32 vcc_lo, exec_lo, s2
	s_wait_kmcnt 0x0
	v_mul_lo_u32 v10, s26, v4
	v_mul_lo_u32 v12, s27, v9
	v_mad_co_u64_u32 v[7:8], null, s26, v9, v[7:8]
	v_mul_lo_u32 v4, s24, v4
	v_mul_lo_u32 v13, s25, v9
	v_mad_co_u64_u32 v[1:2], null, s24, v9, v[1:2]
	s_delay_alu instid0(VALU_DEP_4) | instskip(NEXT) | instid1(VALU_DEP_2)
	v_add3_u32 v8, v12, v8, v10
	v_add3_u32 v2, v13, v2, v4
	s_wait_alu 0xfffe
	s_cbranch_vccnz .LBB0_9
; %bb.7:                                ;   in Loop: Header=BB0_2 Depth=1
	v_dual_mov_b32 v10, v6 :: v_dual_mov_b32 v9, v5
	s_branch .LBB0_2
.LBB0_8:
	v_dual_mov_b32 v1, v7 :: v_dual_mov_b32 v2, v8
	v_dual_mov_b32 v5, v9 :: v_dual_mov_b32 v6, v10
.LBB0_9:
	s_load_b64 s[0:1], s[0:1], 0x28
	v_and_b32_e32 v3, 1, v11
	v_mul_hi_u32 v9, 0x29cbc15, v0
	s_lshl_b64 s[10:11], s[10:11], 3
	s_wait_alu 0xfffe
	s_add_nc_u64 s[2:3], s[14:15], s[10:11]
	s_wait_kmcnt 0x0
	v_cmp_gt_u64_e32 vcc_lo, s[0:1], v[5:6]
	v_cmp_le_u64_e64 s1, s[0:1], v[5:6]
	v_cmp_eq_u32_e64 s0, 1, v3
                                        ; implicit-def: $vgpr3
	s_delay_alu instid0(VALU_DEP_2) | instskip(NEXT) | instid1(SALU_CYCLE_1)
	s_and_saveexec_b32 s14, s1
	s_xor_b32 s1, exec_lo, s14
; %bb.10:
	v_mul_u32_u24_e32 v3, 0x62, v9
                                        ; implicit-def: $vgpr9
                                        ; implicit-def: $vgpr7_vgpr8
	s_delay_alu instid0(VALU_DEP_1)
	v_sub_nc_u32_e32 v3, v0, v3
                                        ; implicit-def: $vgpr0
; %bb.11:
	s_wait_alu 0xfffe
	s_or_saveexec_b32 s1, s1
	s_load_b64 s[2:3], s[2:3], 0x0
	v_cndmask_b32_e64 v4, 0, 0x55d, s0
	s_delay_alu instid0(VALU_DEP_1)
	v_lshlrev_b32_e32 v10, 2, v4
	s_xor_b32 exec_lo, exec_lo, s1
	s_cbranch_execz .LBB0_15
; %bb.12:
	s_add_nc_u64 s[10:11], s[12:13], s[10:11]
	v_lshlrev_b64_e32 v[7:8], 2, v[7:8]
	s_load_b64 s[10:11], s[10:11], 0x0
	s_wait_kmcnt 0x0
	v_mul_lo_u32 v3, s11, v5
	v_mul_lo_u32 v13, s10, v6
	v_mad_co_u64_u32 v[11:12], null, s10, v5, 0
	s_delay_alu instid0(VALU_DEP_1) | instskip(SKIP_1) | instid1(VALU_DEP_2)
	v_add3_u32 v12, v12, v13, v3
	v_mul_u32_u24_e32 v3, 0x62, v9
	v_lshlrev_b64_e32 v[11:12], 2, v[11:12]
	s_delay_alu instid0(VALU_DEP_2) | instskip(NEXT) | instid1(VALU_DEP_1)
	v_sub_nc_u32_e32 v3, v0, v3
	v_lshlrev_b32_e32 v13, 2, v3
	s_delay_alu instid0(VALU_DEP_3) | instskip(SKIP_1) | instid1(VALU_DEP_4)
	v_add_co_u32 v0, s0, s4, v11
	s_wait_alu 0xf1ff
	v_add_co_ci_u32_e64 v9, s0, s5, v12, s0
	s_mov_b32 s4, exec_lo
	s_delay_alu instid0(VALU_DEP_2) | instskip(SKIP_1) | instid1(VALU_DEP_2)
	v_add_co_u32 v7, s0, v0, v7
	s_wait_alu 0xf1ff
	v_add_co_ci_u32_e64 v8, s0, v9, v8, s0
	v_add3_u32 v0, 0, v10, v13
	s_delay_alu instid0(VALU_DEP_3) | instskip(SKIP_1) | instid1(VALU_DEP_3)
	v_add_co_u32 v11, s0, v7, v13
	s_wait_alu 0xf1ff
	v_add_co_ci_u32_e64 v12, s0, 0, v8, s0
	s_clause 0xd
	global_load_b32 v9, v[11:12], off
	global_load_b32 v14, v[11:12], off offset:392
	global_load_b32 v15, v[11:12], off offset:784
	;; [unrolled: 1-line block ×13, first 2 shown]
	v_add_nc_u32_e32 v12, 0x200, v0
	v_add_nc_u32_e32 v13, 0x400, v0
	;; [unrolled: 1-line block ×6, first 2 shown]
	s_wait_loadcnt 0xc
	ds_store_2addr_b32 v0, v9, v14 offset1:98
	s_wait_loadcnt 0xa
	ds_store_2addr_b32 v12, v15, v16 offset0:68 offset1:166
	s_wait_loadcnt 0x8
	ds_store_2addr_b32 v13, v17, v18 offset0:136 offset1:234
	;; [unrolled: 2-line block ×6, first 2 shown]
	v_cmpx_eq_u32_e32 0x61, v3
	s_cbranch_execz .LBB0_14
; %bb.13:
	global_load_b32 v7, v[7:8], off offset:5488
	v_mov_b32_e32 v3, 0x61
	s_wait_loadcnt 0x0
	ds_store_b32 v0, v7 offset:5100
.LBB0_14:
	s_wait_alu 0xfffe
	s_or_b32 exec_lo, exec_lo, s4
.LBB0_15:
	s_delay_alu instid0(SALU_CYCLE_1)
	s_or_b32 exec_lo, exec_lo, s1
	v_lshl_add_u32 v0, v4, 2, 0
	v_lshlrev_b32_e32 v11, 2, v3
	global_wb scope:SCOPE_SE
	s_wait_dscnt 0x0
	s_wait_kmcnt 0x0
	s_barrier_signal -1
	s_barrier_wait -1
	global_inv scope:SCOPE_SE
	v_add_nc_u32_e32 v9, v0, v11
	v_sub_nc_u32_e32 v15, v0, v11
	s_mov_b32 s1, exec_lo
                                        ; implicit-def: $vgpr7_vgpr8
	ds_load_u16 v14, v9
	ds_load_u16 v16, v15 offset:5488
	s_wait_dscnt 0x0
	v_add_f16_e32 v13, v16, v14
	v_sub_f16_e32 v12, v14, v16
	v_cmpx_ne_u32_e32 0, v3
	s_wait_alu 0xfffe
	s_xor_b32 s1, exec_lo, s1
	s_cbranch_execz .LBB0_17
; %bb.16:
	v_mov_b32_e32 v4, 0
	v_add_f16_e32 v13, v16, v14
	v_sub_f16_e32 v14, v14, v16
	s_delay_alu instid0(VALU_DEP_3) | instskip(NEXT) | instid1(VALU_DEP_1)
	v_lshlrev_b64_e32 v[7:8], 2, v[3:4]
	v_add_co_u32 v7, s0, s8, v7
	s_wait_alu 0xf1ff
	s_delay_alu instid0(VALU_DEP_2)
	v_add_co_ci_u32_e64 v8, s0, s9, v8, s0
	global_load_b32 v7, v[7:8], off offset:5480
	ds_load_u16 v8, v15 offset:5490
	ds_load_u16 v12, v9 offset:2
	s_wait_dscnt 0x0
	v_add_f16_e32 v16, v8, v12
	v_sub_f16_e32 v8, v12, v8
	s_wait_loadcnt 0x0
	v_lshrrev_b32_e32 v17, 16, v7
	s_delay_alu instid0(VALU_DEP_1) | instskip(NEXT) | instid1(VALU_DEP_3)
	v_fma_f16 v18, -v14, v17, v13
	v_fma_f16 v19, v16, v17, -v8
	v_fma_f16 v12, v16, v17, v8
	v_fma_f16 v13, v14, v17, v13
	s_delay_alu instid0(VALU_DEP_4) | instskip(NEXT) | instid1(VALU_DEP_4)
	v_fmac_f16_e32 v18, v7, v16
	v_fmac_f16_e32 v19, v14, v7
	s_delay_alu instid0(VALU_DEP_4) | instskip(NEXT) | instid1(VALU_DEP_4)
	v_fmac_f16_e32 v12, v14, v7
	v_fma_f16 v13, -v7, v16, v13
	v_dual_mov_b32 v8, v4 :: v_dual_mov_b32 v7, v3
	s_delay_alu instid0(VALU_DEP_4)
	v_pack_b32_f16 v14, v18, v19
	ds_store_b32 v15, v14 offset:5488
.LBB0_17:
	s_wait_alu 0xfffe
	s_and_not1_saveexec_b32 s0, s1
	s_cbranch_execz .LBB0_19
; %bb.18:
	ds_load_b32 v4, v0 offset:2744
	v_mov_b32_e32 v7, 0
	v_mov_b32_e32 v8, 0
	s_wait_dscnt 0x0
	v_pk_mul_f16 v4, 0xc0004000, v4
	ds_store_b32 v0, v4 offset:2744
.LBB0_19:
	s_wait_alu 0xfffe
	s_or_b32 exec_lo, exec_lo, s0
	v_lshlrev_b64_e32 v[7:8], 2, v[7:8]
	s_add_nc_u64 s[0:1], s[8:9], 0x1568
	v_add_nc_u32_e32 v27, 0xc4, v3
	v_add_nc_u32_e32 v28, 0x126, v3
	;; [unrolled: 1-line block ×4, first 2 shown]
	s_wait_alu 0xfffe
	v_add_co_u32 v7, s0, s0, v7
	s_wait_alu 0xf1ff
	v_add_co_ci_u32_e64 v8, s0, s1, v8, s0
	v_add_nc_u32_e32 v31, 0x24c, v3
	v_and_b32_e32 v32, 1, v3
	v_lshlrev_b32_e32 v35, 3, v27
	s_clause 0x5
	global_load_b32 v4, v[7:8], off offset:392
	global_load_b32 v14, v[7:8], off offset:784
	;; [unrolled: 1-line block ×6, first 2 shown]
	v_perm_b32 v7, v12, v13, 0x5040100
	v_lshlrev_b32_e32 v36, 3, v28
	v_lshlrev_b32_e32 v37, 3, v29
	v_lshlrev_b32_e32 v40, 3, v30
	v_lshlrev_b32_e32 v41, 3, v31
	ds_store_b32 v9, v7
	ds_load_b32 v7, v9 offset:392
	ds_load_b32 v12, v15 offset:5096
	v_lshlrev_b32_e32 v42, 2, v32
	v_add3_u32 v35, 0, v35, v10
	v_add3_u32 v36, 0, v36, v10
	v_add3_u32 v37, 0, v37, v10
	v_add3_u32 v40, 0, v40, v10
	v_add3_u32 v41, 0, v41, v10
	s_wait_dscnt 0x1
	v_lshrrev_b32_e32 v13, 16, v7
	s_wait_dscnt 0x0
	v_lshrrev_b32_e32 v19, 16, v12
	v_add_f16_e32 v20, v7, v12
	v_sub_f16_e32 v7, v7, v12
	s_delay_alu instid0(VALU_DEP_3) | instskip(SKIP_3) | instid1(VALU_DEP_1)
	v_add_f16_e32 v12, v19, v13
	v_sub_f16_e32 v13, v13, v19
	s_wait_loadcnt 0x5
	v_lshrrev_b32_e32 v21, 16, v4
	v_fma_f16 v19, v7, v21, v20
	s_delay_alu instid0(VALU_DEP_3) | instskip(SKIP_2) | instid1(VALU_DEP_4)
	v_fma_f16 v22, v12, v21, v13
	v_fma_f16 v20, -v7, v21, v20
	v_fma_f16 v13, v12, v21, -v13
	v_fma_f16 v19, -v4, v12, v19
	s_delay_alu instid0(VALU_DEP_4) | instskip(NEXT) | instid1(VALU_DEP_4)
	v_fmac_f16_e32 v22, v7, v4
	v_fmac_f16_e32 v20, v4, v12
	s_delay_alu instid0(VALU_DEP_4) | instskip(NEXT) | instid1(VALU_DEP_3)
	v_fmac_f16_e32 v13, v7, v4
	v_pack_b32_f16 v4, v19, v22
	s_wait_loadcnt 0x4
	v_lshrrev_b32_e32 v19, 16, v14
	s_delay_alu instid0(VALU_DEP_3)
	v_pack_b32_f16 v7, v20, v13
	ds_store_b32 v9, v4 offset:392
	ds_store_b32 v15, v7 offset:5096
	ds_load_b32 v4, v9 offset:784
	ds_load_b32 v7, v15 offset:4704
	s_wait_dscnt 0x1
	v_lshrrev_b32_e32 v12, 16, v4
	s_wait_dscnt 0x0
	v_lshrrev_b32_e32 v13, 16, v7
	v_add_f16_e32 v20, v4, v7
	v_sub_f16_e32 v4, v4, v7
	s_delay_alu instid0(VALU_DEP_3) | instskip(SKIP_1) | instid1(VALU_DEP_3)
	v_add_f16_e32 v7, v13, v12
	v_sub_f16_e32 v12, v12, v13
	v_fma_f16 v13, v4, v19, v20
	v_fma_f16 v20, -v4, v19, v20
	s_delay_alu instid0(VALU_DEP_3) | instskip(SKIP_1) | instid1(VALU_DEP_4)
	v_fma_f16 v21, v7, v19, v12
	v_fma_f16 v12, v7, v19, -v12
	v_fma_f16 v13, -v14, v7, v13
	s_delay_alu instid0(VALU_DEP_4) | instskip(NEXT) | instid1(VALU_DEP_4)
	v_fmac_f16_e32 v20, v14, v7
	v_fmac_f16_e32 v21, v4, v14
	s_delay_alu instid0(VALU_DEP_4) | instskip(SKIP_2) | instid1(VALU_DEP_3)
	v_fmac_f16_e32 v12, v4, v14
	s_wait_loadcnt 0x3
	v_lshrrev_b32_e32 v14, 16, v16
	v_pack_b32_f16 v4, v13, v21
	s_delay_alu instid0(VALU_DEP_3)
	v_pack_b32_f16 v7, v20, v12
	ds_store_b32 v9, v4 offset:784
	ds_store_b32 v15, v7 offset:4704
	ds_load_b32 v4, v9 offset:1176
	ds_load_b32 v7, v15 offset:4312
	s_wait_dscnt 0x1
	v_lshrrev_b32_e32 v12, 16, v4
	s_wait_dscnt 0x0
	v_lshrrev_b32_e32 v13, 16, v7
	v_add_f16_e32 v19, v4, v7
	v_sub_f16_e32 v4, v4, v7
	s_delay_alu instid0(VALU_DEP_3) | instskip(SKIP_1) | instid1(VALU_DEP_3)
	v_add_f16_e32 v7, v13, v12
	v_sub_f16_e32 v12, v12, v13
	v_fma_f16 v13, v4, v14, v19
	v_fma_f16 v19, -v4, v14, v19
	s_delay_alu instid0(VALU_DEP_3) | instskip(SKIP_1) | instid1(VALU_DEP_4)
	v_fma_f16 v20, v7, v14, v12
	v_fma_f16 v12, v7, v14, -v12
	v_fma_f16 v13, -v16, v7, v13
	s_delay_alu instid0(VALU_DEP_4) | instskip(SKIP_4) | instid1(VALU_DEP_2)
	v_fmac_f16_e32 v19, v16, v7
	s_wait_loadcnt 0x2
	v_lshrrev_b32_e32 v14, 16, v17
	v_fmac_f16_e32 v20, v4, v16
	v_fmac_f16_e32 v12, v4, v16
	v_pack_b32_f16 v4, v13, v20
	s_delay_alu instid0(VALU_DEP_2)
	v_pack_b32_f16 v7, v19, v12
	ds_store_b32 v9, v4 offset:1176
	ds_store_b32 v15, v7 offset:4312
	ds_load_b32 v4, v9 offset:1568
	ds_load_b32 v7, v15 offset:3920
	s_wait_dscnt 0x1
	v_lshrrev_b32_e32 v12, 16, v4
	s_wait_dscnt 0x0
	v_lshrrev_b32_e32 v13, 16, v7
	v_add_f16_e32 v16, v4, v7
	v_sub_f16_e32 v4, v4, v7
	s_delay_alu instid0(VALU_DEP_3) | instskip(SKIP_1) | instid1(VALU_DEP_3)
	v_add_f16_e32 v7, v13, v12
	v_sub_f16_e32 v12, v12, v13
	v_fma_f16 v13, v4, v14, v16
	v_fma_f16 v16, -v4, v14, v16
	s_delay_alu instid0(VALU_DEP_3) | instskip(SKIP_1) | instid1(VALU_DEP_4)
	v_fma_f16 v19, v7, v14, v12
	v_fma_f16 v12, v7, v14, -v12
	v_fma_f16 v13, -v17, v7, v13
	s_delay_alu instid0(VALU_DEP_4) | instskip(SKIP_4) | instid1(VALU_DEP_2)
	v_fmac_f16_e32 v16, v17, v7
	s_wait_loadcnt 0x1
	v_lshrrev_b32_e32 v14, 16, v18
	v_fmac_f16_e32 v19, v4, v17
	v_fmac_f16_e32 v12, v4, v17
	v_pack_b32_f16 v4, v13, v19
	s_delay_alu instid0(VALU_DEP_2)
	v_pack_b32_f16 v7, v16, v12
	ds_store_b32 v9, v4 offset:1568
	ds_store_b32 v15, v7 offset:3920
	ds_load_b32 v4, v9 offset:1960
	ds_load_b32 v7, v15 offset:3528
	s_wait_dscnt 0x1
	v_lshrrev_b32_e32 v12, 16, v4
	s_wait_dscnt 0x0
	v_lshrrev_b32_e32 v13, 16, v7
	v_add_f16_e32 v16, v4, v7
	v_sub_f16_e32 v4, v4, v7
	s_delay_alu instid0(VALU_DEP_3) | instskip(SKIP_1) | instid1(VALU_DEP_3)
	v_add_f16_e32 v7, v13, v12
	v_sub_f16_e32 v12, v12, v13
	v_fma_f16 v13, v4, v14, v16
	v_fma_f16 v16, -v4, v14, v16
	s_delay_alu instid0(VALU_DEP_3) | instskip(SKIP_1) | instid1(VALU_DEP_4)
	v_fma_f16 v17, v7, v14, v12
	v_fma_f16 v12, v7, v14, -v12
	v_fma_f16 v13, -v18, v7, v13
	s_delay_alu instid0(VALU_DEP_4) | instskip(SKIP_3) | instid1(VALU_DEP_3)
	v_fmac_f16_e32 v16, v18, v7
	v_add_nc_u32_e32 v14, 0x62, v3
	v_fmac_f16_e32 v17, v4, v18
	v_fmac_f16_e32 v12, v4, v18
	v_lshlrev_b32_e32 v34, 3, v14
	s_delay_alu instid0(VALU_DEP_3) | instskip(NEXT) | instid1(VALU_DEP_3)
	v_pack_b32_f16 v4, v13, v17
	v_pack_b32_f16 v7, v16, v12
	ds_store_b32 v9, v4 offset:1960
	ds_store_b32 v15, v7 offset:3528
	ds_load_b32 v7, v9 offset:2352
	ds_load_b32 v12, v15 offset:3136
	v_add3_u32 v4, 0, v11, v10
	v_add3_u32 v34, 0, v34, v10
	s_delay_alu instid0(VALU_DEP_2)
	v_add_nc_u32_e32 v33, v4, v11
	s_wait_loadcnt 0x0
	v_lshrrev_b32_e32 v11, 16, v8
	s_wait_dscnt 0x1
	v_lshrrev_b32_e32 v13, 16, v7
	s_wait_dscnt 0x0
	v_lshrrev_b32_e32 v16, 16, v12
	v_add_f16_e32 v17, v7, v12
	v_sub_f16_e32 v12, v7, v12
	v_add_nc_u32_e32 v7, 0xa00, v4
	s_delay_alu instid0(VALU_DEP_4) | instskip(SKIP_1) | instid1(VALU_DEP_4)
	v_add_f16_e32 v18, v16, v13
	v_sub_f16_e32 v13, v13, v16
	v_fma_f16 v16, v12, v11, v17
	v_fma_f16 v17, -v12, v11, v17
	s_delay_alu instid0(VALU_DEP_3) | instskip(SKIP_1) | instid1(VALU_DEP_4)
	v_fma_f16 v19, v18, v11, v13
	v_fma_f16 v13, v18, v11, -v13
	v_fma_f16 v16, -v8, v18, v16
	s_delay_alu instid0(VALU_DEP_4)
	v_fmac_f16_e32 v17, v8, v18
	v_add_nc_u32_e32 v11, 0x400, v4
	v_fmac_f16_e32 v19, v12, v8
	v_fmac_f16_e32 v13, v12, v8
	v_add_nc_u32_e32 v8, 0xc00, v4
	v_add_nc_u32_e32 v12, 0x600, v4
	s_delay_alu instid0(VALU_DEP_4) | instskip(NEXT) | instid1(VALU_DEP_4)
	v_pack_b32_f16 v16, v16, v19
	v_pack_b32_f16 v17, v17, v13
	v_add_nc_u32_e32 v13, 0x1000, v4
	ds_store_b32 v9, v16 offset:2352
	ds_store_b32 v15, v17 offset:3136
	global_wb scope:SCOPE_SE
	s_wait_dscnt 0x0
	s_barrier_signal -1
	s_barrier_wait -1
	global_inv scope:SCOPE_SE
	global_wb scope:SCOPE_SE
	s_barrier_signal -1
	s_barrier_wait -1
	global_inv scope:SCOPE_SE
	ds_load_2addr_b32 v[15:16], v7 offset0:46 offset1:144
	ds_load_b32 v38, v9
	ds_load_2addr_b32 v[17:18], v4 offset0:98 offset1:196
	ds_load_2addr_b32 v[19:20], v8 offset0:114 offset1:212
	;; [unrolled: 1-line block ×5, first 2 shown]
	ds_load_b32 v39, v4 offset:5096
	global_wb scope:SCOPE_SE
	s_wait_dscnt 0x0
	s_barrier_signal -1
	s_barrier_wait -1
	global_inv scope:SCOPE_SE
	v_pk_add_f16 v15, v38, v15 neg_lo:[0,1] neg_hi:[0,1]
	v_pk_add_f16 v16, v17, v16 neg_lo:[0,1] neg_hi:[0,1]
	;; [unrolled: 1-line block ×7, first 2 shown]
	v_pk_fma_f16 v38, v38, 2.0, v15 op_sel_hi:[1,0,1] neg_lo:[0,0,1] neg_hi:[0,0,1]
	v_pk_fma_f16 v17, v17, 2.0, v16 op_sel_hi:[1,0,1] neg_lo:[0,0,1] neg_hi:[0,0,1]
	;; [unrolled: 1-line block ×7, first 2 shown]
	ds_store_2addr_b32 v33, v38, v15 offset1:1
	ds_store_2addr_b32 v34, v17, v16 offset1:1
	;; [unrolled: 1-line block ×7, first 2 shown]
	global_wb scope:SCOPE_SE
	s_wait_dscnt 0x0
	s_barrier_signal -1
	s_barrier_wait -1
	global_inv scope:SCOPE_SE
	global_load_b32 v33, v42, s[8:9]
	v_lshlrev_b32_e32 v15, 1, v3
	v_and_b32_e32 v34, 3, v3
	v_lshlrev_b32_e32 v16, 1, v14
	v_lshlrev_b32_e32 v17, 1, v27
	v_lshlrev_b32_e32 v18, 1, v28
	v_lshlrev_b32_e32 v19, 1, v29
	v_and_or_b32 v15, 0xfc, v15, v32
	v_lshlrev_b32_e32 v20, 1, v30
	v_lshlrev_b32_e32 v21, 1, v31
	v_mul_u32_u24_e32 v22, 6, v34
	v_and_or_b32 v16, 0x1fc, v16, v32
	v_lshlrev_b32_e32 v15, 2, v15
	v_and_or_b32 v17, 0x3fc, v17, v32
	v_and_or_b32 v18, 0x3fc, v18, v32
	v_and_or_b32 v19, 0x7fc, v19, v32
	v_and_or_b32 v20, 0x7fc, v20, v32
	v_and_or_b32 v21, 0x5fc, v21, v32
	v_lshlrev_b32_e32 v27, 2, v22
	v_add3_u32 v29, 0, v15, v10
	v_lshlrev_b32_e32 v22, 2, v16
	v_lshlrev_b32_e32 v23, 2, v17
	;; [unrolled: 1-line block ×3, first 2 shown]
	ds_load_b32 v31, v9
	ds_load_b32 v32, v4 offset:5096
	ds_load_2addr_b32 v[15:16], v13 offset0:54 offset1:152
	v_lshlrev_b32_e32 v25, 2, v19
	ds_load_2addr_b32 v[17:18], v8 offset0:114 offset1:212
	v_lshlrev_b32_e32 v26, 2, v20
	;; [unrolled: 2-line block ×3, first 2 shown]
	v_add3_u32 v35, 0, v22, v10
	v_add3_u32 v36, 0, v23, v10
	;; [unrolled: 1-line block ×6, first 2 shown]
	ds_load_2addr_b32 v[21:22], v4 offset0:98 offset1:196
	ds_load_2addr_b32 v[23:24], v11 offset0:38 offset1:136
	;; [unrolled: 1-line block ×3, first 2 shown]
	v_and_b32_e32 v30, 3, v14
	global_wb scope:SCOPE_SE
	s_wait_loadcnt_dscnt 0x0
	s_barrier_signal -1
	s_barrier_wait -1
	global_inv scope:SCOPE_SE
	v_mul_u32_u24_e32 v28, 6, v30
	v_pk_mul_f16 v41, v33, v32 op_sel:[0,1]
	v_pk_mul_f16 v42, v33, v16 op_sel:[0,1]
	;; [unrolled: 1-line block ×7, first 2 shown]
	v_pk_fma_f16 v48, v33, v32, v41 op_sel:[0,0,1] op_sel_hi:[1,1,0] neg_lo:[0,0,1] neg_hi:[0,0,1]
	v_pk_fma_f16 v32, v33, v32, v41 op_sel:[0,0,1] op_sel_hi:[1,0,0]
	v_pk_fma_f16 v41, v33, v16, v42 op_sel:[0,0,1] op_sel_hi:[1,1,0] neg_lo:[0,0,1] neg_hi:[0,0,1]
	v_pk_fma_f16 v16, v33, v16, v42 op_sel:[0,0,1] op_sel_hi:[1,0,0]
	;; [unrolled: 2-line block ×7, first 2 shown]
	v_bfi_b32 v17, 0xffff, v44, v17
	v_bfi_b32 v18, 0xffff, v43, v18
	;; [unrolled: 1-line block ×7, first 2 shown]
	v_pk_add_f16 v20, v21, v20 neg_lo:[0,1] neg_hi:[0,1]
	v_pk_add_f16 v17, v22, v17 neg_lo:[0,1] neg_hi:[0,1]
	;; [unrolled: 1-line block ×7, first 2 shown]
	v_pk_fma_f16 v31, v31, 2.0, v19 op_sel_hi:[1,0,1] neg_lo:[0,0,1] neg_hi:[0,0,1]
	v_pk_fma_f16 v21, v21, 2.0, v20 op_sel_hi:[1,0,1] neg_lo:[0,0,1] neg_hi:[0,0,1]
	;; [unrolled: 1-line block ×7, first 2 shown]
	ds_store_2addr_b32 v29, v31, v19 offset1:2
	ds_store_2addr_b32 v35, v21, v20 offset1:2
	;; [unrolled: 1-line block ×7, first 2 shown]
	v_lshlrev_b32_e32 v15, 2, v28
	global_wb scope:SCOPE_SE
	s_wait_dscnt 0x0
	s_barrier_signal -1
	s_barrier_wait -1
	global_inv scope:SCOPE_SE
	s_clause 0x3
	global_load_b128 v[18:21], v27, s[8:9] offset:8
	global_load_b64 v[26:27], v27, s[8:9] offset:24
	global_load_b128 v[22:25], v15, s[8:9] offset:8
	global_load_b64 v[28:29], v15, s[8:9] offset:24
	v_lshrrev_b16 v15, 2, v3
	v_lshrrev_b16 v16, 2, v14
	v_lshrrev_b32_e32 v17, 2, v3
	v_lshrrev_b32_e32 v31, 2, v14
	s_delay_alu instid0(VALU_DEP_4) | instskip(NEXT) | instid1(VALU_DEP_4)
	v_and_b32_e32 v15, 63, v15
	v_and_b32_e32 v16, 63, v16
	s_delay_alu instid0(VALU_DEP_4) | instskip(NEXT) | instid1(VALU_DEP_4)
	v_mul_u32_u24_e32 v17, 28, v17
	v_mul_u32_u24_e32 v31, 28, v31
	s_delay_alu instid0(VALU_DEP_4) | instskip(NEXT) | instid1(VALU_DEP_4)
	v_mul_lo_u16 v15, v15, 37
	v_mul_lo_u16 v16, v16, 37
	s_delay_alu instid0(VALU_DEP_4) | instskip(NEXT) | instid1(VALU_DEP_4)
	v_or_b32_e32 v33, v17, v34
	v_or_b32_e32 v43, v31, v30
	s_delay_alu instid0(VALU_DEP_4) | instskip(NEXT) | instid1(VALU_DEP_4)
	v_lshrrev_b16 v15, 8, v15
	v_lshrrev_b16 v17, 8, v16
	s_delay_alu instid0(VALU_DEP_4) | instskip(NEXT) | instid1(VALU_DEP_4)
	v_lshlrev_b32_e32 v42, 2, v33
	v_lshlrev_b32_e32 v43, 2, v43
	s_delay_alu instid0(VALU_DEP_4) | instskip(NEXT) | instid1(VALU_DEP_4)
	v_mul_lo_u16 v32, v15, 28
	v_mul_lo_u16 v40, v17, 28
	s_delay_alu instid0(VALU_DEP_4) | instskip(NEXT) | instid1(VALU_DEP_4)
	v_add3_u32 v42, 0, v42, v10
	v_add3_u32 v43, 0, v43, v10
	v_and_b32_e32 v15, 0xffff, v15
	v_sub_nc_u16 v16, v3, v32
	ds_load_2addr_b32 v[30:31], v13 offset0:54 offset1:152
	ds_load_2addr_b32 v[32:33], v11 offset0:38 offset1:136
	;; [unrolled: 1-line block ×5, first 2 shown]
	v_sub_nc_u16 v14, v14, v40
	ds_load_b32 v44, v4 offset:5096
	ds_load_2addr_b32 v[40:41], v4 offset0:98 offset1:196
	ds_load_b32 v46, v9
	v_and_b32_e32 v16, 0xff, v16
	global_wb scope:SCOPE_SE
	s_wait_loadcnt_dscnt 0x0
	v_and_b32_e32 v14, 0xff, v14
	s_barrier_signal -1
	s_barrier_wait -1
	v_mul_u32_u24_e32 v45, 6, v16
	global_inv scope:SCOPE_SE
	v_mul_u32_u24_e32 v47, 6, v14
	v_and_b32_e32 v17, 0xffff, v17
	v_mad_u32_u24 v15, 0x310, v15, 0
	v_lshlrev_b32_e32 v45, 2, v45
	v_lshlrev_b32_e32 v16, 2, v16
	v_lshrrev_b32_e32 v48, 16, v31
	v_lshrrev_b32_e32 v56, 16, v33
	;; [unrolled: 1-line block ×14, first 2 shown]
	v_mad_u32_u24 v17, 0x310, v17, 0
	v_lshlrev_b32_e32 v14, 2, v14
	v_add3_u32 v15, v15, v16, v10
	s_delay_alu instid0(VALU_DEP_2)
	v_add3_u32 v10, v17, v14, v10
	v_lshrrev_b32_e32 v66, 16, v26
	v_lshrrev_b32_e32 v62, 16, v18
	;; [unrolled: 1-line block ×12, first 2 shown]
	v_mul_f16_e32 v74, v62, v55
	v_mul_f16_e32 v62, v62, v41
	;; [unrolled: 1-line block ×24, first 2 shown]
	v_fma_f16 v41, v18, v41, -v74
	v_fmac_f16_e32 v62, v18, v55
	v_fma_f16 v18, v19, v33, -v75
	v_fmac_f16_e32 v63, v19, v56
	;; [unrolled: 2-line block ×12, first 2 shown]
	v_add_f16_e32 v29, v41, v26
	v_add_f16_e32 v30, v62, v67
	;; [unrolled: 1-line block ×4, first 2 shown]
	v_sub_f16_e32 v26, v41, v26
	v_sub_f16_e32 v31, v62, v67
	;; [unrolled: 1-line block ×4, first 2 shown]
	v_add_f16_e32 v34, v19, v20
	v_add_f16_e32 v35, v64, v65
	v_sub_f16_e32 v19, v20, v19
	v_sub_f16_e32 v20, v65, v64
	v_add_f16_e32 v36, v27, v28
	v_add_f16_e32 v37, v68, v73
	;; [unrolled: 1-line block ×6, first 2 shown]
	v_sub_f16_e32 v27, v27, v28
	v_sub_f16_e32 v28, v68, v73
	;; [unrolled: 1-line block ×4, first 2 shown]
	v_add_f16_e32 v41, v23, v24
	v_sub_f16_e32 v23, v24, v23
	v_sub_f16_e32 v24, v71, v70
	v_add_f16_e32 v44, v70, v71
	v_sub_f16_e32 v50, v32, v29
	v_sub_f16_e32 v51, v33, v30
	;; [unrolled: 1-line block ×6, first 2 shown]
	v_add_f16_e32 v52, v19, v18
	v_add_f16_e32 v53, v20, v21
	v_sub_f16_e32 v54, v19, v18
	v_sub_f16_e32 v55, v20, v21
	;; [unrolled: 1-line block ×4, first 2 shown]
	v_add_f16_e32 v56, v38, v36
	v_add_f16_e32 v57, v39, v37
	v_add_f16_e32 v34, v34, v48
	v_add_f16_e32 v35, v35, v49
	v_sub_f16_e32 v58, v38, v36
	v_sub_f16_e32 v38, v41, v38
	v_add_f16_e32 v63, v24, v25
	v_sub_f16_e32 v65, v24, v25
	v_sub_f16_e32 v25, v25, v28
	;; [unrolled: 1-line block ×8, first 2 shown]
	v_add_f16_e32 v62, v23, v22
	v_sub_f16_e32 v64, v23, v22
	v_add_f16_e32 v26, v52, v26
	v_add_f16_e32 v31, v53, v31
	v_mul_f16_e32 v29, 0x3a52, v29
	v_mul_f16_e32 v30, 0x3a52, v30
	;; [unrolled: 1-line block ×8, first 2 shown]
	v_add_f16_e32 v41, v41, v56
	v_add_f16_e32 v44, v44, v57
	v_sub_f16_e32 v22, v22, v27
	v_add_f16_e32 v46, v34, v46
	v_add_f16_e32 v60, v35, v60
	v_sub_f16_e32 v24, v28, v24
	v_add_f16_e32 v28, v63, v28
	v_mul_f16_e32 v56, 0x2b26, v38
	v_mul_f16_e32 v63, 0xb846, v65
	;; [unrolled: 1-line block ×3, first 2 shown]
	v_sub_f16_e32 v23, v27, v23
	v_add_f16_e32 v27, v62, v27
	v_mul_f16_e32 v36, 0x3a52, v36
	v_mul_f16_e32 v37, 0x3a52, v37
	;; [unrolled: 1-line block ×3, first 2 shown]
	v_fmamk_f16 v32, v32, 0x2b26, v29
	v_fmamk_f16 v33, v33, 0x2b26, v30
	v_fma_f16 v48, v50, 0x39e0, -v48
	v_fma_f16 v49, v51, 0x39e0, -v49
	;; [unrolled: 1-line block ×4, first 2 shown]
	v_fmamk_f16 v50, v19, 0x3574, v52
	v_fmamk_f16 v51, v20, 0x3574, v53
	v_fma_f16 v18, v18, 0x3b00, -v52
	v_fma_f16 v21, v21, 0x3b00, -v53
	v_fma_f16 v19, v19, 0xb574, -v54
	v_fma_f16 v20, v20, 0xb574, -v55
	v_add_f16_e32 v40, v41, v40
	v_add_f16_e32 v52, v44, v61
	v_mul_f16_e32 v57, 0x2b26, v39
	v_mul_f16_e32 v64, 0x3b00, v22
	v_fmamk_f16 v34, v34, 0xbcab, v46
	v_fmamk_f16 v35, v35, 0xbcab, v60
	v_fma_f16 v53, v58, 0x39e0, -v56
	v_fmamk_f16 v56, v24, 0x3574, v63
	v_fma_f16 v25, v25, 0x3b00, -v63
	v_fma_f16 v24, v24, 0xb574, -v65
	v_fmamk_f16 v38, v38, 0x2b26, v36
	v_fmamk_f16 v39, v39, 0x2b26, v37
	;; [unrolled: 1-line block ×3, first 2 shown]
	v_fmac_f16_e32 v50, 0x370e, v26
	v_fmac_f16_e32 v51, 0x370e, v31
	v_fmac_f16_e32 v18, 0x370e, v26
	v_fmac_f16_e32 v21, 0x370e, v31
	v_fmac_f16_e32 v19, 0x370e, v26
	v_fmac_f16_e32 v20, 0x370e, v31
	v_fmamk_f16 v26, v41, 0xbcab, v40
	v_fmamk_f16 v31, v44, 0xbcab, v52
	v_fma_f16 v54, v59, 0x39e0, -v57
	v_fma_f16 v36, v58, 0xb9e0, -v36
	;; [unrolled: 1-line block ×5, first 2 shown]
	v_add_f16_e32 v32, v32, v34
	v_add_f16_e32 v33, v33, v35
	v_fmac_f16_e32 v56, 0x370e, v28
	v_fmac_f16_e32 v25, 0x370e, v28
	;; [unrolled: 1-line block ×3, first 2 shown]
	v_pack_b32_f16 v28, v40, v52
	v_add_f16_e32 v40, v48, v34
	v_add_f16_e32 v41, v49, v35
	v_add_f16_e32 v29, v29, v34
	v_add_f16_e32 v30, v30, v35
	v_fmac_f16_e32 v55, 0x370e, v27
	v_add_f16_e32 v34, v38, v26
	v_add_f16_e32 v35, v39, v31
	v_fmac_f16_e32 v22, 0x370e, v27
	v_fmac_f16_e32 v23, 0x370e, v27
	v_add_f16_e32 v38, v53, v26
	v_add_f16_e32 v39, v54, v31
	;; [unrolled: 1-line block ×5, first 2 shown]
	v_sub_f16_e32 v37, v33, v50
	v_pack_b32_f16 v27, v46, v60
	v_add_f16_e32 v44, v20, v29
	v_sub_f16_e32 v46, v30, v19
	v_sub_f16_e32 v48, v40, v21
	v_add_f16_e32 v49, v18, v41
	v_add_f16_e32 v21, v21, v40
	v_sub_f16_e32 v18, v41, v18
	v_sub_f16_e32 v20, v29, v20
	v_add_f16_e32 v19, v19, v30
	v_sub_f16_e32 v29, v32, v51
	v_add_f16_e32 v30, v50, v33
	v_add_f16_e32 v32, v56, v34
	v_sub_f16_e32 v33, v35, v55
	v_add_f16_e32 v40, v24, v26
	v_sub_f16_e32 v41, v31, v23
	v_sub_f16_e32 v50, v38, v25
	v_add_f16_e32 v51, v22, v39
	v_add_f16_e32 v25, v25, v38
	v_sub_f16_e32 v22, v39, v22
	v_sub_f16_e32 v24, v26, v24
	v_add_f16_e32 v23, v23, v31
	v_sub_f16_e32 v26, v34, v56
	v_add_f16_e32 v31, v55, v35
	v_pack_b32_f16 v34, v36, v37
	v_pack_b32_f16 v35, v44, v46
	;; [unrolled: 1-line block ×12, first 2 shown]
	ds_store_2addr_b32 v42, v27, v34 offset1:4
	ds_store_2addr_b32 v42, v35, v36 offset0:8 offset1:12
	ds_store_2addr_b32 v42, v18, v19 offset0:16 offset1:20
	ds_store_b32 v42, v20 offset:96
	ds_store_2addr_b32 v43, v28, v21 offset1:4
	ds_store_2addr_b32 v43, v29, v30 offset0:8 offset1:12
	ds_store_2addr_b32 v43, v22, v23 offset0:16 offset1:20
	ds_store_b32 v43, v24 offset:96
	v_lshlrev_b32_e32 v28, 2, v47
	global_wb scope:SCOPE_SE
	s_wait_dscnt 0x0
	s_barrier_signal -1
	s_barrier_wait -1
	global_inv scope:SCOPE_SE
	s_clause 0x3
	global_load_b128 v[18:21], v45, s[8:9] offset:104
	global_load_b64 v[26:27], v45, s[8:9] offset:120
	global_load_b128 v[22:25], v28, s[8:9] offset:104
	global_load_b64 v[28:29], v28, s[8:9] offset:120
	ds_load_2addr_b32 v[30:31], v13 offset0:54 offset1:152
	ds_load_2addr_b32 v[32:33], v11 offset0:38 offset1:136
	;; [unrolled: 1-line block ×5, first 2 shown]
	ds_load_b32 v43, v4 offset:5096
	ds_load_2addr_b32 v[40:41], v4 offset0:98 offset1:196
	ds_load_b32 v44, v9
	v_mul_u32_u24_e32 v42, 6, v3
	global_wb scope:SCOPE_SE
	s_wait_loadcnt_dscnt 0x0
	s_barrier_signal -1
	s_barrier_wait -1
	global_inv scope:SCOPE_SE
	v_lshlrev_b32_e32 v42, 2, v42
	v_lshrrev_b32_e32 v14, 16, v31
	v_lshrrev_b32_e32 v50, 16, v33
	;; [unrolled: 1-line block ×26, first 2 shown]
	v_mul_f16_e32 v68, v56, v49
	v_mul_f16_e32 v56, v56, v41
	;; [unrolled: 1-line block ×24, first 2 shown]
	v_fma_f16 v41, v18, v41, -v68
	v_fmac_f16_e32 v56, v18, v49
	v_fma_f16 v18, v19, v33, -v69
	v_fmac_f16_e32 v57, v19, v50
	;; [unrolled: 2-line block ×12, first 2 shown]
	v_add_f16_e32 v25, v41, v26
	v_add_f16_e32 v27, v56, v61
	;; [unrolled: 1-line block ×4, first 2 shown]
	v_sub_f16_e32 v26, v41, v26
	v_sub_f16_e32 v28, v56, v61
	;; [unrolled: 1-line block ×4, first 2 shown]
	v_add_f16_e32 v31, v19, v20
	v_add_f16_e32 v32, v58, v59
	v_sub_f16_e32 v19, v20, v19
	v_sub_f16_e32 v20, v59, v58
	v_add_f16_e32 v33, v14, v24
	v_add_f16_e32 v34, v62, v67
	;; [unrolled: 1-line block ×6, first 2 shown]
	v_sub_f16_e32 v14, v14, v24
	v_sub_f16_e32 v24, v62, v67
	;; [unrolled: 1-line block ×4, first 2 shown]
	v_add_f16_e32 v37, v17, v22
	v_add_f16_e32 v38, v64, v65
	v_sub_f16_e32 v17, v22, v17
	v_sub_f16_e32 v22, v65, v64
	;; [unrolled: 1-line block ×8, first 2 shown]
	v_add_f16_e32 v46, v19, v18
	v_add_f16_e32 v47, v20, v21
	v_sub_f16_e32 v48, v19, v18
	v_sub_f16_e32 v49, v20, v21
	;; [unrolled: 1-line block ×4, first 2 shown]
	v_add_f16_e32 v50, v35, v33
	v_add_f16_e32 v51, v36, v34
	;; [unrolled: 1-line block ×4, first 2 shown]
	v_sub_f16_e32 v19, v26, v19
	v_sub_f16_e32 v20, v28, v20
	;; [unrolled: 1-line block ×8, first 2 shown]
	v_add_f16_e32 v56, v17, v16
	v_add_f16_e32 v57, v22, v23
	v_sub_f16_e32 v58, v17, v16
	v_sub_f16_e32 v59, v22, v23
	;; [unrolled: 1-line block ×4, first 2 shown]
	v_add_f16_e32 v26, v46, v26
	v_add_f16_e32 v28, v47, v28
	v_mul_f16_e32 v25, 0x3a52, v25
	v_mul_f16_e32 v27, 0x3a52, v27
	;; [unrolled: 1-line block ×8, first 2 shown]
	v_add_f16_e32 v37, v37, v50
	v_add_f16_e32 v38, v38, v51
	;; [unrolled: 1-line block ×4, first 2 shown]
	v_sub_f16_e32 v17, v14, v17
	v_sub_f16_e32 v22, v24, v22
	v_add_f16_e32 v14, v56, v14
	v_add_f16_e32 v24, v57, v24
	v_mul_f16_e32 v33, 0x3a52, v33
	v_mul_f16_e32 v34, 0x3a52, v34
	;; [unrolled: 1-line block ×8, first 2 shown]
	v_fmamk_f16 v29, v29, 0x2b26, v25
	v_fmamk_f16 v30, v30, 0x2b26, v27
	v_fma_f16 v39, v43, 0x39e0, -v39
	v_fma_f16 v41, v45, 0x39e0, -v41
	;; [unrolled: 1-line block ×4, first 2 shown]
	v_fmamk_f16 v43, v19, 0x3574, v46
	v_fmamk_f16 v45, v20, 0x3574, v47
	v_fma_f16 v18, v18, 0x3b00, -v46
	v_fma_f16 v21, v21, 0x3b00, -v47
	;; [unrolled: 1-line block ×4, first 2 shown]
	v_add_f16_e32 v40, v37, v40
	v_add_f16_e32 v46, v38, v55
	v_fmamk_f16 v31, v31, 0xbcab, v44
	v_fmamk_f16 v32, v32, 0xbcab, v54
	;; [unrolled: 1-line block ×4, first 2 shown]
	v_fma_f16 v47, v52, 0x39e0, -v50
	v_fma_f16 v48, v53, 0x39e0, -v51
	;; [unrolled: 1-line block ×4, first 2 shown]
	v_fmamk_f16 v49, v17, 0x3574, v56
	v_fmamk_f16 v50, v22, 0x3574, v57
	v_fma_f16 v16, v16, 0x3b00, -v56
	v_fma_f16 v23, v23, 0x3b00, -v57
	;; [unrolled: 1-line block ×4, first 2 shown]
	v_fmac_f16_e32 v43, 0x370e, v26
	v_fmac_f16_e32 v45, 0x370e, v28
	;; [unrolled: 1-line block ×6, first 2 shown]
	v_fmamk_f16 v26, v37, 0xbcab, v40
	v_fmamk_f16 v28, v38, 0xbcab, v46
	v_add_f16_e32 v29, v29, v31
	v_add_f16_e32 v30, v30, v32
	v_add_f16_e32 v37, v39, v31
	v_add_f16_e32 v38, v41, v32
	v_add_f16_e32 v25, v25, v31
	v_add_f16_e32 v27, v27, v32
	v_fmac_f16_e32 v49, 0x370e, v14
	v_fmac_f16_e32 v50, 0x370e, v24
	;; [unrolled: 1-line block ×6, first 2 shown]
	v_add_f16_e32 v31, v35, v26
	v_add_f16_e32 v32, v36, v28
	v_add_f16_e32 v35, v47, v26
	v_add_f16_e32 v36, v48, v28
	v_add_f16_e32 v26, v33, v26
	v_add_f16_e32 v28, v34, v28
	v_add_f16_e32 v33, v45, v29
	v_sub_f16_e32 v34, v30, v43
	v_pack_b32_f16 v14, v44, v54
	v_pack_b32_f16 v24, v40, v46
	v_add_f16_e32 v39, v20, v25
	v_sub_f16_e32 v40, v27, v19
	v_sub_f16_e32 v41, v37, v21
	v_add_f16_e32 v44, v18, v38
	v_add_f16_e32 v21, v21, v37
	v_sub_f16_e32 v18, v38, v18
	v_sub_f16_e32 v20, v25, v20
	v_add_f16_e32 v19, v19, v27
	v_sub_f16_e32 v25, v29, v45
	v_add_f16_e32 v27, v43, v30
	v_add_f16_e32 v29, v50, v31
	v_sub_f16_e32 v30, v32, v49
	v_add_f16_e32 v37, v22, v26
	v_sub_f16_e32 v38, v28, v17
	v_sub_f16_e32 v43, v35, v23
	v_add_f16_e32 v45, v16, v36
	v_add_f16_e32 v23, v23, v35
	v_sub_f16_e32 v16, v36, v16
	v_sub_f16_e32 v22, v26, v22
	v_add_f16_e32 v17, v17, v28
	v_sub_f16_e32 v26, v31, v50
	v_add_f16_e32 v28, v49, v32
	v_pack_b32_f16 v31, v33, v34
	v_pack_b32_f16 v32, v39, v40
	;; [unrolled: 1-line block ×12, first 2 shown]
	ds_store_2addr_b32 v15, v14, v31 offset1:28
	ds_store_2addr_b32 v15, v32, v33 offset0:56 offset1:84
	ds_store_2addr_b32 v15, v18, v19 offset0:112 offset1:140
	ds_store_b32 v15, v20 offset:672
	ds_store_2addr_b32 v10, v24, v21 offset1:28
	ds_store_2addr_b32 v10, v25, v27 offset0:56 offset1:84
	ds_store_2addr_b32 v10, v16, v17 offset0:112 offset1:140
	ds_store_b32 v10, v22 offset:672
	global_wb scope:SCOPE_SE
	s_wait_dscnt 0x0
	s_barrier_signal -1
	s_barrier_wait -1
	global_inv scope:SCOPE_SE
	s_clause 0x3
	global_load_b128 v[14:17], v42, s[8:9] offset:776
	global_load_b64 v[22:23], v42, s[8:9] offset:792
	global_load_b128 v[18:21], v42, s[8:9] offset:3128
	global_load_b64 v[24:25], v42, s[8:9] offset:3144
	ds_load_2addr_b32 v[26:27], v13 offset0:54 offset1:152
	ds_load_2addr_b32 v[10:11], v11 offset0:38 offset1:136
	;; [unrolled: 1-line block ×5, first 2 shown]
	ds_load_b32 v32, v4 offset:5096
	ds_load_2addr_b32 v[30:31], v4 offset0:98 offset1:196
	ds_load_b32 v9, v9
	v_add_nc_u32_e32 v33, 0x300, v4
	v_add_nc_u32_e32 v34, 0x900, v4
	;; [unrolled: 1-line block ×3, first 2 shown]
	global_wb scope:SCOPE_SE
	s_wait_loadcnt_dscnt 0x0
	s_barrier_signal -1
	s_barrier_wait -1
	global_inv scope:SCOPE_SE
	v_lshrrev_b32_e32 v36, 16, v27
	v_lshrrev_b32_e32 v44, 16, v11
	;; [unrolled: 1-line block ×26, first 2 shown]
	v_mul_f16_e32 v62, v50, v43
	v_mul_f16_e32 v50, v50, v31
	;; [unrolled: 1-line block ×24, first 2 shown]
	v_fma_f16 v31, v14, v31, -v62
	v_fmac_f16_e32 v50, v14, v43
	v_fma_f16 v11, v15, v11, -v63
	v_fmac_f16_e32 v51, v15, v44
	;; [unrolled: 2-line block ×12, first 2 shown]
	v_add_f16_e32 v19, v31, v15
	v_add_f16_e32 v20, v50, v55
	;; [unrolled: 1-line block ×4, first 2 shown]
	v_sub_f16_e32 v15, v31, v15
	v_sub_f16_e32 v21, v50, v55
	;; [unrolled: 1-line block ×4, first 2 shown]
	v_add_f16_e32 v24, v13, v14
	v_add_f16_e32 v25, v52, v53
	v_sub_f16_e32 v13, v14, v13
	v_sub_f16_e32 v14, v53, v52
	v_add_f16_e32 v26, v10, v18
	v_add_f16_e32 v27, v56, v61
	v_sub_f16_e32 v10, v10, v18
	v_sub_f16_e32 v18, v56, v61
	;; [unrolled: 4-line block ×3, first 2 shown]
	v_add_f16_e32 v31, v16, v7
	v_sub_f16_e32 v7, v7, v16
	v_sub_f16_e32 v16, v59, v58
	v_add_f16_e32 v36, v22, v19
	v_add_f16_e32 v37, v23, v20
	;; [unrolled: 1-line block ×3, first 2 shown]
	v_sub_f16_e32 v38, v22, v19
	v_sub_f16_e32 v39, v23, v20
	;; [unrolled: 1-line block ×6, first 2 shown]
	v_add_f16_e32 v40, v13, v8
	v_add_f16_e32 v41, v14, v11
	v_sub_f16_e32 v42, v13, v8
	v_sub_f16_e32 v43, v14, v11
	v_sub_f16_e32 v8, v8, v15
	v_sub_f16_e32 v11, v11, v21
	v_add_f16_e32 v44, v28, v26
	v_add_f16_e32 v45, v29, v27
	v_sub_f16_e32 v46, v28, v26
	v_sub_f16_e32 v28, v31, v28
	v_add_f16_e32 v51, v16, v17
	v_sub_f16_e32 v53, v16, v17
	v_sub_f16_e32 v17, v17, v18
	v_add_f16_e32 v24, v24, v36
	v_add_f16_e32 v25, v25, v37
	;; [unrolled: 1-line block ×3, first 2 shown]
	v_sub_f16_e32 v52, v7, v12
	v_sub_f16_e32 v12, v12, v10
	v_sub_f16_e32 v13, v15, v13
	v_sub_f16_e32 v14, v21, v14
	v_sub_f16_e32 v47, v29, v27
	v_sub_f16_e32 v26, v26, v31
	v_sub_f16_e32 v27, v27, v32
	v_sub_f16_e32 v29, v32, v29
	v_sub_f16_e32 v16, v18, v16
	v_add_f16_e32 v15, v40, v15
	v_add_f16_e32 v21, v41, v21
	v_mul_f16_e32 v19, 0x3a52, v19
	v_mul_f16_e32 v20, 0x3a52, v20
	;; [unrolled: 1-line block ×8, first 2 shown]
	v_add_f16_e32 v31, v31, v44
	v_add_f16_e32 v32, v32, v45
	;; [unrolled: 1-line block ×3, first 2 shown]
	v_mul_f16_e32 v44, 0x2b26, v28
	v_mul_f16_e32 v51, 0xb846, v53
	;; [unrolled: 1-line block ×3, first 2 shown]
	v_add_f16_e32 v9, v24, v9
	v_add_f16_e32 v48, v25, v48
	v_sub_f16_e32 v7, v10, v7
	v_add_f16_e32 v10, v50, v10
	v_mul_f16_e32 v50, 0xb846, v52
	v_mul_f16_e32 v52, 0x3b00, v12
	;; [unrolled: 1-line block ×5, first 2 shown]
	v_fmamk_f16 v22, v22, 0x2b26, v19
	v_fmamk_f16 v23, v23, 0x2b26, v20
	v_fma_f16 v36, v38, 0x39e0, -v36
	v_fma_f16 v37, v39, 0x39e0, -v37
	;; [unrolled: 1-line block ×4, first 2 shown]
	v_fmamk_f16 v38, v13, 0x3574, v40
	v_fmamk_f16 v39, v14, 0x3574, v41
	v_fma_f16 v8, v8, 0x3b00, -v40
	v_fma_f16 v11, v11, 0x3b00, -v41
	;; [unrolled: 1-line block ×4, first 2 shown]
	v_add_f16_e32 v30, v31, v30
	v_add_f16_e32 v40, v32, v49
	v_fma_f16 v41, v46, 0x39e0, -v44
	v_fmamk_f16 v44, v16, 0x3574, v51
	v_fma_f16 v17, v17, 0x3b00, -v51
	v_fma_f16 v16, v16, 0xb574, -v53
	v_fmamk_f16 v24, v24, 0xbcab, v9
	v_fmamk_f16 v25, v25, 0xbcab, v48
	;; [unrolled: 1-line block ×3, first 2 shown]
	v_fma_f16 v12, v12, 0x3b00, -v50
	v_fma_f16 v7, v7, 0xb574, -v52
	v_fmamk_f16 v28, v28, 0x2b26, v26
	v_fmamk_f16 v29, v29, 0x2b26, v27
	v_fma_f16 v42, v47, 0x39e0, -v45
	v_fma_f16 v26, v46, 0xb9e0, -v26
	;; [unrolled: 1-line block ×3, first 2 shown]
	v_fmac_f16_e32 v38, 0x370e, v15
	v_fmac_f16_e32 v39, 0x370e, v21
	;; [unrolled: 1-line block ×6, first 2 shown]
	v_fmamk_f16 v15, v31, 0xbcab, v30
	v_fmamk_f16 v21, v32, 0xbcab, v40
	v_fmac_f16_e32 v44, 0x370e, v18
	v_fmac_f16_e32 v17, 0x370e, v18
	;; [unrolled: 1-line block ×3, first 2 shown]
	v_add_f16_e32 v18, v22, v24
	v_add_f16_e32 v22, v23, v25
	;; [unrolled: 1-line block ×4, first 2 shown]
	v_fmac_f16_e32 v43, 0x370e, v10
	v_fmac_f16_e32 v12, 0x370e, v10
	;; [unrolled: 1-line block ×3, first 2 shown]
	v_pack_b32_f16 v10, v30, v40
	v_add_f16_e32 v23, v36, v24
	v_add_f16_e32 v30, v37, v25
	;; [unrolled: 1-line block ×9, first 2 shown]
	v_sub_f16_e32 v27, v22, v38
	v_add_f16_e32 v31, v14, v19
	v_sub_f16_e32 v32, v20, v13
	v_sub_f16_e32 v36, v23, v11
	v_add_f16_e32 v37, v8, v30
	v_add_f16_e32 v11, v11, v23
	v_sub_f16_e32 v8, v30, v8
	v_sub_f16_e32 v14, v19, v14
	v_add_f16_e32 v13, v13, v20
	v_sub_f16_e32 v18, v18, v39
	v_add_f16_e32 v19, v38, v22
	v_add_f16_e32 v23, v16, v15
	v_sub_f16_e32 v30, v21, v7
	v_sub_f16_e32 v15, v15, v16
	v_add_f16_e32 v7, v7, v21
	v_pack_b32_f16 v16, v26, v27
	v_pack_b32_f16 v21, v31, v32
	v_pack_b32_f16 v26, v36, v37
	v_pack_b32_f16 v8, v11, v8
	v_pack_b32_f16 v11, v14, v13
	v_pack_b32_f16 v13, v18, v19
	v_pack_b32_f16 v9, v9, v48
	v_add_f16_e32 v20, v44, v24
	v_sub_f16_e32 v22, v25, v43
	v_sub_f16_e32 v38, v28, v17
	v_add_f16_e32 v39, v12, v29
	v_add_f16_e32 v17, v17, v28
	v_sub_f16_e32 v12, v29, v12
	v_sub_f16_e32 v14, v24, v44
	v_add_f16_e32 v18, v43, v25
	ds_store_2addr_b32 v33, v16, v21 offset0:4 offset1:200
	ds_store_2addr_b32 v34, v26, v8 offset0:12 offset1:208
	;; [unrolled: 1-line block ×3, first 2 shown]
	ds_store_2addr_b32 v4, v9, v10 offset1:98
	ds_store_b16 v4, v20 offset:1176
	ds_store_b16 v4, v22 offset:1178
	ds_store_b16 v4, v23 offset:1960
	ds_store_b16 v4, v30 offset:1962
	ds_store_b16 v4, v38 offset:2744
	ds_store_b16 v4, v39 offset:2746
	ds_store_b16 v4, v17 offset:3528
	ds_store_b16 v4, v12 offset:3530
	ds_store_b16 v4, v15 offset:4312
	ds_store_b16 v4, v7 offset:4314
	ds_store_b16 v4, v14 offset:5096
	ds_store_b16 v4, v18 offset:5098
	global_wb scope:SCOPE_SE
	s_wait_dscnt 0x0
	s_barrier_signal -1
	s_barrier_wait -1
	global_inv scope:SCOPE_SE
	s_and_saveexec_b32 s0, vcc_lo
	s_cbranch_execz .LBB0_21
; %bb.20:
	v_mul_lo_u32 v7, s3, v5
	v_mul_lo_u32 v8, s2, v6
	v_mad_co_u64_u32 v[5:6], null, s2, v5, 0
	v_mov_b32_e32 v4, 0
	v_lshl_add_u32 v29, v3, 2, v0
	v_lshlrev_b64_e32 v[0:1], 2, v[1:2]
	s_delay_alu instid0(VALU_DEP_2) | instskip(SKIP_4) | instid1(VALU_DEP_4)
	v_add_nc_u32_e32 v2, 0x200, v29
	v_add3_u32 v6, v6, v8, v7
	v_add_nc_u32_e32 v7, 0x62, v3
	v_lshlrev_b64_e32 v[13:14], 2, v[3:4]
	v_dual_mov_b32 v8, v4 :: v_dual_add_nc_u32 v9, 0xc4, v3
	v_lshlrev_b64_e32 v[5:6], 2, v[5:6]
	v_mov_b32_e32 v10, v4
	ds_load_2addr_b32 v[11:12], v29 offset1:98
	v_dual_mov_b32 v20, v4 :: v_dual_add_nc_u32 v19, 0x1ea, v3
	v_dual_mov_b32 v22, v4 :: v_dual_add_nc_u32 v21, 0x24c, v3
	v_add_co_u32 v15, vcc_lo, s6, v5
	s_wait_alu 0xfffd
	v_add_co_ci_u32_e32 v16, vcc_lo, s7, v6, vcc_lo
	v_lshlrev_b64_e32 v[5:6], 2, v[7:8]
	s_delay_alu instid0(VALU_DEP_3) | instskip(SKIP_1) | instid1(VALU_DEP_3)
	v_add_co_u32 v30, vcc_lo, v15, v0
	s_wait_alu 0xfffd
	v_add_co_ci_u32_e32 v31, vcc_lo, v16, v1, vcc_lo
	v_lshlrev_b64_e32 v[0:1], 2, v[9:10]
	s_delay_alu instid0(VALU_DEP_3)
	v_add_co_u32 v7, vcc_lo, v30, v13
	v_add_nc_u32_e32 v9, 0x126, v3
	s_wait_alu 0xfffd
	v_add_co_ci_u32_e32 v8, vcc_lo, v31, v14, vcc_lo
	ds_load_2addr_b32 v[13:14], v2 offset0:68 offset1:166
	v_add_nc_u32_e32 v2, 0x400, v29
	v_dual_mov_b32 v16, v4 :: v_dual_add_nc_u32 v15, 0x188, v3
	v_add_co_u32 v5, vcc_lo, v30, v5
	v_lshlrev_b64_e32 v[9:10], 2, v[9:10]
	ds_load_2addr_b32 v[17:18], v2 offset0:136 offset1:234
	v_add_nc_u32_e32 v2, 0x800, v29
	s_wait_alu 0xfffd
	v_add_co_ci_u32_e32 v6, vcc_lo, v31, v6, vcc_lo
	v_add_co_u32 v0, vcc_lo, v30, v0
	v_lshlrev_b64_e32 v[15:16], 2, v[15:16]
	s_wait_alu 0xfffd
	v_add_co_ci_u32_e32 v1, vcc_lo, v31, v1, vcc_lo
	v_add_co_u32 v9, vcc_lo, v30, v9
	v_lshlrev_b64_e32 v[19:20], 2, v[19:20]
	ds_load_2addr_b32 v[25:26], v2 offset0:76 offset1:174
	v_dual_mov_b32 v24, v4 :: v_dual_add_nc_u32 v23, 0x2ae, v3
	s_wait_alu 0xfffd
	v_add_co_ci_u32_e32 v10, vcc_lo, v31, v10, vcc_lo
	v_add_co_u32 v15, vcc_lo, v30, v15
	v_lshlrev_b64_e32 v[21:22], 2, v[21:22]
	s_wait_alu 0xfffd
	v_add_co_ci_u32_e32 v16, vcc_lo, v31, v16, vcc_lo
	v_add_co_u32 v19, vcc_lo, v30, v19
	v_lshlrev_b64_e32 v[23:24], 2, v[23:24]
	s_wait_alu 0xfffd
	v_add_co_ci_u32_e32 v20, vcc_lo, v31, v20, vcc_lo
	v_add_co_u32 v21, vcc_lo, v30, v21
	v_add_nc_u32_e32 v2, 0xc00, v29
	s_wait_alu 0xfffd
	v_add_co_ci_u32_e32 v22, vcc_lo, v31, v22, vcc_lo
	v_add_co_u32 v23, vcc_lo, v30, v23
	v_dual_mov_b32 v28, v4 :: v_dual_add_nc_u32 v27, 0x310, v3
	s_wait_alu 0xfffd
	v_add_co_ci_u32_e32 v24, vcc_lo, v31, v24, vcc_lo
	s_wait_dscnt 0x3
	s_clause 0x1
	global_store_b32 v[7:8], v11, off
	global_store_b32 v[5:6], v12, off
	s_wait_dscnt 0x2
	s_clause 0x1
	global_store_b32 v[0:1], v13, off
	global_store_b32 v[9:10], v14, off
	;; [unrolled: 4-line block ×4, first 2 shown]
	ds_load_2addr_b32 v[0:1], v2 offset0:16 offset1:114
	v_add_nc_u32_e32 v2, 0xe00, v29
	v_dual_mov_b32 v6, v4 :: v_dual_add_nc_u32 v5, 0x372, v3
	v_lshlrev_b64_e32 v[27:28], 2, v[27:28]
	v_dual_mov_b32 v10, v4 :: v_dual_add_nc_u32 v9, 0x3d4, v3
	ds_load_2addr_b32 v[13:14], v2 offset0:84 offset1:182
	v_add_nc_u32_e32 v2, 0x1000, v29
	v_lshlrev_b64_e32 v[5:6], 2, v[5:6]
	v_dual_mov_b32 v12, v4 :: v_dual_add_nc_u32 v11, 0x436, v3
	v_add_co_u32 v7, vcc_lo, v30, v27
	v_lshlrev_b64_e32 v[9:10], 2, v[9:10]
	v_dual_mov_b32 v16, v4 :: v_dual_add_nc_u32 v15, 0x498, v3
	ds_load_2addr_b32 v[17:18], v2 offset0:152 offset1:250
	s_wait_alu 0xfffd
	v_add_co_ci_u32_e32 v8, vcc_lo, v31, v28, vcc_lo
	v_add_co_u32 v5, vcc_lo, v30, v5
	v_lshlrev_b64_e32 v[11:12], 2, v[11:12]
	v_add_nc_u32_e32 v3, 0x4fa, v3
	s_wait_alu 0xfffd
	v_add_co_ci_u32_e32 v6, vcc_lo, v31, v6, vcc_lo
	v_add_co_u32 v9, vcc_lo, v30, v9
	v_lshlrev_b64_e32 v[15:16], 2, v[15:16]
	s_wait_alu 0xfffd
	v_add_co_ci_u32_e32 v10, vcc_lo, v31, v10, vcc_lo
	v_add_co_u32 v11, vcc_lo, v30, v11
	v_lshlrev_b64_e32 v[2:3], 2, v[3:4]
	s_wait_alu 0xfffd
	v_add_co_ci_u32_e32 v12, vcc_lo, v31, v12, vcc_lo
	v_add_co_u32 v15, vcc_lo, v30, v15
	s_wait_alu 0xfffd
	v_add_co_ci_u32_e32 v16, vcc_lo, v31, v16, vcc_lo
	v_add_co_u32 v2, vcc_lo, v30, v2
	s_wait_alu 0xfffd
	v_add_co_ci_u32_e32 v3, vcc_lo, v31, v3, vcc_lo
	s_wait_dscnt 0x2
	s_clause 0x1
	global_store_b32 v[7:8], v0, off
	global_store_b32 v[5:6], v1, off
	s_wait_dscnt 0x1
	s_clause 0x1
	global_store_b32 v[9:10], v13, off
	global_store_b32 v[11:12], v14, off
	;; [unrolled: 4-line block ×3, first 2 shown]
.LBB0_21:
	s_nop 0
	s_sendmsg sendmsg(MSG_DEALLOC_VGPRS)
	s_endpgm
	.section	.rodata,"a",@progbits
	.p2align	6, 0x0
	.amdhsa_kernel fft_rtc_fwd_len1372_factors_2_2_7_7_7_wgs_196_tpt_98_halfLds_half_op_CI_CI_unitstride_sbrr_C2R_dirReg
		.amdhsa_group_segment_fixed_size 0
		.amdhsa_private_segment_fixed_size 0
		.amdhsa_kernarg_size 104
		.amdhsa_user_sgpr_count 2
		.amdhsa_user_sgpr_dispatch_ptr 0
		.amdhsa_user_sgpr_queue_ptr 0
		.amdhsa_user_sgpr_kernarg_segment_ptr 1
		.amdhsa_user_sgpr_dispatch_id 0
		.amdhsa_user_sgpr_private_segment_size 0
		.amdhsa_wavefront_size32 1
		.amdhsa_uses_dynamic_stack 0
		.amdhsa_enable_private_segment 0
		.amdhsa_system_sgpr_workgroup_id_x 1
		.amdhsa_system_sgpr_workgroup_id_y 0
		.amdhsa_system_sgpr_workgroup_id_z 0
		.amdhsa_system_sgpr_workgroup_info 0
		.amdhsa_system_vgpr_workitem_id 0
		.amdhsa_next_free_vgpr 86
		.amdhsa_next_free_sgpr 39
		.amdhsa_reserve_vcc 1
		.amdhsa_float_round_mode_32 0
		.amdhsa_float_round_mode_16_64 0
		.amdhsa_float_denorm_mode_32 3
		.amdhsa_float_denorm_mode_16_64 3
		.amdhsa_fp16_overflow 0
		.amdhsa_workgroup_processor_mode 1
		.amdhsa_memory_ordered 1
		.amdhsa_forward_progress 0
		.amdhsa_round_robin_scheduling 0
		.amdhsa_exception_fp_ieee_invalid_op 0
		.amdhsa_exception_fp_denorm_src 0
		.amdhsa_exception_fp_ieee_div_zero 0
		.amdhsa_exception_fp_ieee_overflow 0
		.amdhsa_exception_fp_ieee_underflow 0
		.amdhsa_exception_fp_ieee_inexact 0
		.amdhsa_exception_int_div_zero 0
	.end_amdhsa_kernel
	.text
.Lfunc_end0:
	.size	fft_rtc_fwd_len1372_factors_2_2_7_7_7_wgs_196_tpt_98_halfLds_half_op_CI_CI_unitstride_sbrr_C2R_dirReg, .Lfunc_end0-fft_rtc_fwd_len1372_factors_2_2_7_7_7_wgs_196_tpt_98_halfLds_half_op_CI_CI_unitstride_sbrr_C2R_dirReg
                                        ; -- End function
	.section	.AMDGPU.csdata,"",@progbits
; Kernel info:
; codeLenInByte = 10764
; NumSgprs: 41
; NumVgprs: 86
; ScratchSize: 0
; MemoryBound: 0
; FloatMode: 240
; IeeeMode: 1
; LDSByteSize: 0 bytes/workgroup (compile time only)
; SGPRBlocks: 5
; VGPRBlocks: 10
; NumSGPRsForWavesPerEU: 41
; NumVGPRsForWavesPerEU: 86
; Occupancy: 16
; WaveLimiterHint : 1
; COMPUTE_PGM_RSRC2:SCRATCH_EN: 0
; COMPUTE_PGM_RSRC2:USER_SGPR: 2
; COMPUTE_PGM_RSRC2:TRAP_HANDLER: 0
; COMPUTE_PGM_RSRC2:TGID_X_EN: 1
; COMPUTE_PGM_RSRC2:TGID_Y_EN: 0
; COMPUTE_PGM_RSRC2:TGID_Z_EN: 0
; COMPUTE_PGM_RSRC2:TIDIG_COMP_CNT: 0
	.text
	.p2alignl 7, 3214868480
	.fill 96, 4, 3214868480
	.type	__hip_cuid_6ecf7516ec9a0bd5,@object ; @__hip_cuid_6ecf7516ec9a0bd5
	.section	.bss,"aw",@nobits
	.globl	__hip_cuid_6ecf7516ec9a0bd5
__hip_cuid_6ecf7516ec9a0bd5:
	.byte	0                               ; 0x0
	.size	__hip_cuid_6ecf7516ec9a0bd5, 1

	.ident	"AMD clang version 19.0.0git (https://github.com/RadeonOpenCompute/llvm-project roc-6.4.0 25133 c7fe45cf4b819c5991fe208aaa96edf142730f1d)"
	.section	".note.GNU-stack","",@progbits
	.addrsig
	.addrsig_sym __hip_cuid_6ecf7516ec9a0bd5
	.amdgpu_metadata
---
amdhsa.kernels:
  - .args:
      - .actual_access:  read_only
        .address_space:  global
        .offset:         0
        .size:           8
        .value_kind:     global_buffer
      - .offset:         8
        .size:           8
        .value_kind:     by_value
      - .actual_access:  read_only
        .address_space:  global
        .offset:         16
        .size:           8
        .value_kind:     global_buffer
      - .actual_access:  read_only
        .address_space:  global
        .offset:         24
        .size:           8
        .value_kind:     global_buffer
      - .actual_access:  read_only
        .address_space:  global
        .offset:         32
        .size:           8
        .value_kind:     global_buffer
      - .offset:         40
        .size:           8
        .value_kind:     by_value
      - .actual_access:  read_only
        .address_space:  global
        .offset:         48
        .size:           8
        .value_kind:     global_buffer
      - .actual_access:  read_only
        .address_space:  global
        .offset:         56
        .size:           8
        .value_kind:     global_buffer
      - .offset:         64
        .size:           4
        .value_kind:     by_value
      - .actual_access:  read_only
        .address_space:  global
        .offset:         72
        .size:           8
        .value_kind:     global_buffer
      - .actual_access:  read_only
        .address_space:  global
        .offset:         80
        .size:           8
        .value_kind:     global_buffer
      - .actual_access:  read_only
        .address_space:  global
        .offset:         88
        .size:           8
        .value_kind:     global_buffer
      - .actual_access:  write_only
        .address_space:  global
        .offset:         96
        .size:           8
        .value_kind:     global_buffer
    .group_segment_fixed_size: 0
    .kernarg_segment_align: 8
    .kernarg_segment_size: 104
    .language:       OpenCL C
    .language_version:
      - 2
      - 0
    .max_flat_workgroup_size: 196
    .name:           fft_rtc_fwd_len1372_factors_2_2_7_7_7_wgs_196_tpt_98_halfLds_half_op_CI_CI_unitstride_sbrr_C2R_dirReg
    .private_segment_fixed_size: 0
    .sgpr_count:     41
    .sgpr_spill_count: 0
    .symbol:         fft_rtc_fwd_len1372_factors_2_2_7_7_7_wgs_196_tpt_98_halfLds_half_op_CI_CI_unitstride_sbrr_C2R_dirReg.kd
    .uniform_work_group_size: 1
    .uses_dynamic_stack: false
    .vgpr_count:     86
    .vgpr_spill_count: 0
    .wavefront_size: 32
    .workgroup_processor_mode: 1
amdhsa.target:   amdgcn-amd-amdhsa--gfx1201
amdhsa.version:
  - 1
  - 2
...

	.end_amdgpu_metadata
